;; amdgpu-corpus repo=ROCm/rocFFT kind=compiled arch=gfx1030 opt=O3
	.text
	.amdgcn_target "amdgcn-amd-amdhsa--gfx1030"
	.amdhsa_code_object_version 6
	.protected	fft_rtc_fwd_len216_factors_6_4_3_3_wgs_252_tpt_18_dim2_sp_ip_CI_sbcc_twdbase8_3step_dirReg ; -- Begin function fft_rtc_fwd_len216_factors_6_4_3_3_wgs_252_tpt_18_dim2_sp_ip_CI_sbcc_twdbase8_3step_dirReg
	.globl	fft_rtc_fwd_len216_factors_6_4_3_3_wgs_252_tpt_18_dim2_sp_ip_CI_sbcc_twdbase8_3step_dirReg
	.p2align	8
	.type	fft_rtc_fwd_len216_factors_6_4_3_3_wgs_252_tpt_18_dim2_sp_ip_CI_sbcc_twdbase8_3step_dirReg,@function
fft_rtc_fwd_len216_factors_6_4_3_3_wgs_252_tpt_18_dim2_sp_ip_CI_sbcc_twdbase8_3step_dirReg: ; @fft_rtc_fwd_len216_factors_6_4_3_3_wgs_252_tpt_18_dim2_sp_ip_CI_sbcc_twdbase8_3step_dirReg
; %bb.0:
	s_load_dwordx4 s[0:3], s[4:5], 0x10
	s_mov_b64 s[18:19], 0
	s_waitcnt lgkmcnt(0)
	s_load_dwordx2 s[14:15], s[0:1], 0x8
	s_waitcnt lgkmcnt(0)
	s_add_u32 s0, s14, -1
	s_addc_u32 s1, s15, -1
	s_add_u32 s7, 0, 0x49240800
	s_addc_u32 s8, 0, 50
	s_mul_hi_u32 s10, s7, -14
	s_add_i32 s8, s8, 0x12492460
	s_sub_i32 s10, s10, s7
	s_mul_i32 s12, s8, -14
	s_mul_i32 s9, s7, -14
	s_add_i32 s10, s10, s12
	s_mul_hi_u32 s11, s7, s9
	s_mul_i32 s16, s7, s10
	s_mul_hi_u32 s12, s7, s10
	s_mul_hi_u32 s13, s8, s9
	s_mul_i32 s9, s8, s9
	s_add_u32 s11, s11, s16
	s_addc_u32 s12, 0, s12
	s_mul_hi_u32 s17, s8, s10
	s_add_u32 s9, s11, s9
	s_mul_i32 s10, s8, s10
	s_addc_u32 s9, s12, s13
	s_addc_u32 s11, s17, 0
	s_add_u32 s9, s9, s10
	v_add_co_u32 v1, s7, s7, s9
	s_addc_u32 s9, 0, s11
	s_cmp_lg_u32 s7, 0
	s_addc_u32 s7, s8, s9
	v_readfirstlane_b32 s8, v1
	s_mul_i32 s10, s0, s7
	s_mul_hi_u32 s9, s0, s7
	s_mul_hi_u32 s11, s1, s7
	s_mul_i32 s7, s1, s7
	s_mul_hi_u32 s12, s0, s8
	s_mul_hi_u32 s13, s1, s8
	s_mul_i32 s8, s1, s8
	s_add_u32 s10, s12, s10
	s_addc_u32 s9, 0, s9
	s_add_u32 s8, s10, s8
	s_addc_u32 s8, s9, s13
	s_addc_u32 s9, s11, 0
	s_add_u32 s12, s8, s7
	s_addc_u32 s13, 0, s9
	s_mul_i32 s8, s12, 14
	s_add_u32 s7, s12, 1
	v_sub_co_u32 v1, s0, s0, s8
	s_mul_hi_u32 s8, s12, 14
	s_addc_u32 s9, s13, 0
	s_mul_i32 s10, s13, 14
	v_sub_co_u32 v2, s11, v1, 14
	s_add_u32 s16, s12, 2
	s_addc_u32 s17, s13, 0
	s_add_i32 s8, s8, s10
	s_cmp_lg_u32 s0, 0
	v_readfirstlane_b32 s0, v2
	s_subb_u32 s1, s1, s8
	s_cmp_lg_u32 s11, 0
	s_load_dwordx2 s[10:11], s[4:5], 0x50
	s_subb_u32 s8, s1, 0
	s_cmp_gt_u32 s0, 13
	s_cselect_b32 s0, -1, 0
	s_cmp_eq_u32 s8, 0
	v_readfirstlane_b32 s8, v1
	s_cselect_b32 s0, s0, -1
	s_cmp_lg_u32 s0, 0
	s_cselect_b32 s0, s16, s7
	s_cselect_b32 s16, s17, s9
	s_cmp_gt_u32 s8, 13
	s_load_dwordx2 s[8:9], s[2:3], 0x0
	s_cselect_b32 s7, -1, 0
	s_cmp_eq_u32 s1, 0
	s_cselect_b32 s1, s7, -1
	s_mov_b32 s7, 0
	s_cmp_lg_u32 s1, 0
	s_cselect_b32 s0, s0, s12
	s_cselect_b32 s1, s16, s13
	s_add_u32 s16, s0, 1
	s_addc_u32 s17, s1, 0
	v_cmp_lt_u64_e64 s0, s[6:7], s[16:17]
	s_mov_b32 s7, -1
	s_and_b32 vcc_lo, exec_lo, s0
	s_cbranch_vccnz .LBB0_2
; %bb.1:
	v_cvt_f32_u32_e32 v1, s16
	s_sub_i32 s1, 0, s16
	v_rcp_iflag_f32_e32 v1, v1
	v_mul_f32_e32 v1, 0x4f7ffffe, v1
	v_cvt_u32_f32_e32 v1, v1
	v_readfirstlane_b32 s0, v1
	s_mul_i32 s1, s1, s0
	s_mul_hi_u32 s1, s0, s1
	s_add_i32 s0, s0, s1
	s_mul_hi_u32 s0, s6, s0
	s_mul_i32 s1, s0, s16
	s_add_i32 s12, s0, 1
	s_sub_i32 s1, s6, s1
	s_sub_i32 s13, s1, s16
	s_cmp_ge_u32 s1, s16
	s_cselect_b32 s0, s12, s0
	s_cselect_b32 s1, s13, s1
	s_add_i32 s12, s0, 1
	s_cmp_ge_u32 s1, s16
	s_cselect_b32 s18, s12, s0
.LBB0_2:
	s_load_dwordx4 s[0:3], s[2:3], 0x8
	v_mul_u32_u24_e32 v1, 0x124a, v0
	s_mul_i32 s17, s18, s17
	s_mul_hi_u32 s19, s18, s16
	s_mul_i32 s16, s18, s16
	s_add_i32 s19, s19, s17
	v_lshrrev_b32_e32 v31, 16, v1
	s_sub_u32 s6, s6, s16
	s_subb_u32 s16, 0, s19
	s_load_dwordx2 s[12:13], s[4:5], 0x0
	s_mul_hi_u32 s17, s6, 14
	v_mul_lo_u16 v1, v31, 14
	s_mul_i32 s16, s16, 14
	s_mul_i32 s6, s6, 14
	s_add_i32 s19, s17, s16
	v_sub_nc_u16 v32, v0, v1
	s_waitcnt lgkmcnt(0)
	s_mul_i32 s17, s6, s1
	s_mul_hi_u32 s20, s6, s0
	s_mul_i32 s16, s19, s0
	s_mul_i32 s3, s3, s18
	s_mul_hi_u32 s22, s2, s18
	s_add_i32 s17, s20, s17
	s_mul_i32 s21, s6, s0
	s_mul_i32 s2, s2, s18
	s_add_i32 s17, s17, s16
	s_add_i32 s22, s22, s3
	s_add_u32 s2, s2, s21
	v_and_b32_e32 v28, 0xffff, v32
	s_addc_u32 s3, s22, s17
	s_add_u32 s16, s6, 14
	s_addc_u32 s17, s19, 0
	v_cmp_gt_u64_e64 s18, s[16:17], s[14:15]
	v_add_co_u32 v13, s6, s6, v28
	v_add_co_ci_u32_e64 v14, null, s19, 0, s6
	v_cmp_le_u64_e64 s6, s[16:17], s[14:15]
	s_and_b32 vcc_lo, exec_lo, s18
	s_cbranch_vccz .LBB0_8
; %bb.3:
	s_mov_b32 s7, exec_lo
                                        ; implicit-def: $vgpr30
                                        ; implicit-def: $vgpr29
                                        ; implicit-def: $vgpr27
	v_cmpx_le_u64_e64 s[14:15], v[13:14]
	s_xor_b32 s7, exec_lo, s7
; %bb.4:
	v_add_nc_u32_e32 v30, 18, v31
	v_add_nc_u32_e32 v29, 54, v31
	;; [unrolled: 1-line block ×3, first 2 shown]
; %bb.5:
	s_or_saveexec_b32 s7, s7
                                        ; implicit-def: $vgpr5
                                        ; implicit-def: $vgpr11
                                        ; implicit-def: $vgpr15
                                        ; implicit-def: $vgpr19
                                        ; implicit-def: $vgpr17
                                        ; implicit-def: $vgpr21
                                        ; implicit-def: $vgpr7
                                        ; implicit-def: $vgpr23
                                        ; implicit-def: $vgpr25
                                        ; implicit-def: $vgpr9
                                        ; implicit-def: $vgpr3
                                        ; implicit-def: $vgpr1
	s_xor_b32 exec_lo, exec_lo, s7
	s_cbranch_execz .LBB0_7
; %bb.6:
	v_mad_u64_u32 v[1:2], null, s0, v28, 0
	v_mad_u64_u32 v[3:4], null, s8, v31, 0
	v_add_nc_u32_e32 v27, 36, v31
	v_add_nc_u32_e32 v12, 0x48, v31
	;; [unrolled: 1-line block ×3, first 2 shown]
	s_lshl_b64 s[16:17], s[2:3], 3
	v_add_nc_u32_e32 v17, 0x90, v31
	s_add_u32 s16, s10, s16
	v_mad_u64_u32 v[5:6], null, s1, v28, v[2:3]
	v_mad_u64_u32 v[9:10], null, s8, v12, 0
	s_addc_u32 s17, s11, s17
	v_add_nc_u32_e32 v30, 18, v31
	v_add_nc_u32_e32 v29, 54, v31
	;; [unrolled: 1-line block ×3, first 2 shown]
	v_mad_u64_u32 v[6:7], null, s9, v31, v[4:5]
	v_mad_u64_u32 v[7:8], null, s8, v27, 0
	v_mov_b32_e32 v2, v5
	v_mad_u64_u32 v[21:22], null, s8, v25, 0
	v_add_nc_u32_e32 v33, 0x7e, v31
	v_mov_b32_e32 v4, v6
	v_mov_b32_e32 v6, v10
	;; [unrolled: 1-line block ×3, first 2 shown]
	v_lshlrev_b64 v[1:2], 3, v[1:2]
	v_mad_u64_u32 v[23:24], null, s8, v33, 0
	v_lshlrev_b64 v[3:4], 3, v[3:4]
	v_mad_u64_u32 v[10:11], null, s9, v27, v[5:6]
	v_mad_u64_u32 v[5:6], null, s9, v12, v[6:7]
	;; [unrolled: 1-line block ×3, first 2 shown]
	v_add_co_u32 v38, vcc_lo, s16, v1
	v_add_co_ci_u32_e32 v39, vcc_lo, s17, v2, vcc_lo
	v_mov_b32_e32 v8, v10
	v_add_co_u32 v1, vcc_lo, v38, v3
	v_add_co_ci_u32_e32 v2, vcc_lo, v39, v4, vcc_lo
	v_mov_b32_e32 v10, v5
	v_lshlrev_b64 v[4:5], 3, v[7:8]
	v_mov_b32_e32 v3, v12
	v_add_nc_u32_e32 v36, 0xa2, v31
	v_add_nc_u32_e32 v37, 0xc6, v31
	v_mad_u64_u32 v[6:7], null, s9, v15, v[3:4]
	v_lshlrev_b64 v[7:8], 3, v[9:10]
	v_mad_u64_u32 v[15:16], null, s8, v17, 0
	v_add_co_u32 v3, vcc_lo, v38, v4
	v_add_nc_u32_e32 v10, 0xb4, v31
	v_mov_b32_e32 v12, v6
	v_add_co_ci_u32_e32 v4, vcc_lo, v39, v5, vcc_lo
	v_add_co_u32 v5, vcc_lo, v38, v7
	v_add_co_ci_u32_e32 v6, vcc_lo, v39, v8, vcc_lo
	v_lshlrev_b64 v[8:9], 3, v[11:12]
	v_mad_u64_u32 v[11:12], null, s8, v10, 0
	v_mov_b32_e32 v7, v16
	v_mad_u64_u32 v[16:17], null, s9, v17, v[7:8]
	v_add_co_u32 v7, vcc_lo, v38, v8
	v_add_co_ci_u32_e32 v8, vcc_lo, v39, v9, vcc_lo
	v_mov_b32_e32 v9, v12
	v_mad_u64_u32 v[17:18], null, s8, v30, 0
	v_lshlrev_b64 v[15:16], 3, v[15:16]
	v_mad_u64_u32 v[19:20], null, s9, v10, v[9:10]
	s_clause 0x3
	global_load_dwordx2 v[1:2], v[1:2], off
	global_load_dwordx2 v[3:4], v[3:4], off
	;; [unrolled: 1-line block ×4, first 2 shown]
	v_mov_b32_e32 v7, v18
	v_add_co_u32 v15, vcc_lo, v38, v15
	v_add_co_ci_u32_e32 v16, vcc_lo, v39, v16, vcc_lo
	v_mov_b32_e32 v12, v19
	v_mad_u64_u32 v[7:8], null, s9, v30, v[7:8]
	v_mad_u64_u32 v[19:20], null, s8, v29, 0
	v_lshlrev_b64 v[11:12], 3, v[11:12]
	v_mov_b32_e32 v18, v7
	v_mov_b32_e32 v7, v20
	v_add_co_u32 v11, vcc_lo, v38, v11
	v_lshlrev_b64 v[17:18], 3, v[17:18]
	v_add_co_ci_u32_e32 v12, vcc_lo, v39, v12, vcc_lo
	v_mad_u64_u32 v[7:8], null, s9, v29, v[7:8]
	v_mov_b32_e32 v8, v22
	v_add_co_u32 v17, vcc_lo, v38, v17
	v_add_co_ci_u32_e32 v18, vcc_lo, v39, v18, vcc_lo
	v_mov_b32_e32 v20, v7
	v_lshlrev_b64 v[19:20], 3, v[19:20]
	v_add_co_u32 v19, vcc_lo, v38, v19
	v_add_co_ci_u32_e32 v20, vcc_lo, v39, v20, vcc_lo
	s_waitcnt vmcnt(1)
	v_mad_u64_u32 v[7:8], null, s9, v25, v[8:9]
	v_mad_u64_u32 v[25:26], null, s8, v36, 0
	v_mov_b32_e32 v8, v24
	v_mov_b32_e32 v22, v7
	v_mad_u64_u32 v[33:34], null, s9, v33, v[8:9]
	v_mad_u64_u32 v[34:35], null, s8, v37, 0
	v_mov_b32_e32 v8, v26
	v_lshlrev_b64 v[21:22], 3, v[21:22]
	v_mov_b32_e32 v24, v33
	v_mad_u64_u32 v[7:8], null, s9, v36, v[8:9]
	v_mov_b32_e32 v8, v35
	v_add_co_u32 v21, vcc_lo, v38, v21
	v_lshlrev_b64 v[23:24], 3, v[23:24]
	v_add_co_ci_u32_e32 v22, vcc_lo, v39, v22, vcc_lo
	v_mad_u64_u32 v[35:36], null, s9, v37, v[8:9]
	v_mov_b32_e32 v26, v7
	v_add_co_u32 v36, vcc_lo, v38, v23
	v_add_co_ci_u32_e32 v37, vcc_lo, v39, v24, vcc_lo
	v_lshlrev_b64 v[7:8], 3, v[25:26]
	v_lshlrev_b64 v[23:24], 3, v[34:35]
	v_add_co_u32 v33, vcc_lo, v38, v7
	v_add_co_ci_u32_e32 v34, vcc_lo, v39, v8, vcc_lo
	v_add_co_u32 v38, vcc_lo, v38, v23
	v_add_co_ci_u32_e32 v39, vcc_lo, v39, v24, vcc_lo
	s_clause 0x7
	global_load_dwordx2 v[25:26], v[15:16], off
	global_load_dwordx2 v[23:24], v[11:12], off
	;; [unrolled: 1-line block ×8, first 2 shown]
.LBB0_7:
	s_or_b32 exec_lo, exec_lo, s7
	s_cbranch_execz .LBB0_9
	s_branch .LBB0_10
.LBB0_8:
                                        ; implicit-def: $vgpr5
                                        ; implicit-def: $vgpr11
                                        ; implicit-def: $vgpr15
                                        ; implicit-def: $vgpr19
                                        ; implicit-def: $vgpr17
                                        ; implicit-def: $vgpr21
                                        ; implicit-def: $vgpr7
                                        ; implicit-def: $vgpr23
                                        ; implicit-def: $vgpr25
                                        ; implicit-def: $vgpr9
                                        ; implicit-def: $vgpr3
                                        ; implicit-def: $vgpr1
                                        ; implicit-def: $vgpr30
                                        ; implicit-def: $vgpr29
                                        ; implicit-def: $vgpr27
	s_andn2_b32 vcc_lo, exec_lo, s7
	s_cbranch_vccnz .LBB0_10
.LBB0_9:
	v_mad_u64_u32 v[1:2], null, s0, v28, 0
	v_mad_u64_u32 v[3:4], null, s8, v31, 0
	v_add_nc_u32_e32 v27, 36, v31
	s_waitcnt vmcnt(4)
	v_add_nc_u32_e32 v12, 0x48, v31
	s_waitcnt vmcnt(0)
	v_add_nc_u32_e32 v15, 0x6c, v31
	s_lshl_b64 s[16:17], s[2:3], 3
	v_add_nc_u32_e32 v17, 0x90, v31
	s_add_u32 s7, s10, s16
	v_mad_u64_u32 v[5:6], null, s1, v28, v[2:3]
	v_mad_u64_u32 v[9:10], null, s8, v12, 0
	s_addc_u32 s16, s11, s17
	v_add_nc_u32_e32 v30, 18, v31
	v_add_nc_u32_e32 v29, 54, v31
	;; [unrolled: 1-line block ×3, first 2 shown]
	v_mad_u64_u32 v[6:7], null, s9, v31, v[4:5]
	v_mad_u64_u32 v[7:8], null, s8, v27, 0
	v_mov_b32_e32 v2, v5
	v_mad_u64_u32 v[21:22], null, s8, v25, 0
	v_add_nc_u32_e32 v33, 0x7e, v31
	v_mov_b32_e32 v4, v6
	v_mov_b32_e32 v6, v10
	;; [unrolled: 1-line block ×3, first 2 shown]
	v_lshlrev_b64 v[1:2], 3, v[1:2]
	v_mad_u64_u32 v[23:24], null, s8, v33, 0
	v_lshlrev_b64 v[3:4], 3, v[3:4]
	v_mad_u64_u32 v[10:11], null, s9, v27, v[5:6]
	v_mad_u64_u32 v[5:6], null, s9, v12, v[6:7]
	;; [unrolled: 1-line block ×3, first 2 shown]
	v_add_co_u32 v38, vcc_lo, s7, v1
	v_add_co_ci_u32_e32 v39, vcc_lo, s16, v2, vcc_lo
	v_mov_b32_e32 v8, v10
	v_add_co_u32 v1, vcc_lo, v38, v3
	v_add_co_ci_u32_e32 v2, vcc_lo, v39, v4, vcc_lo
	v_mov_b32_e32 v10, v5
	v_lshlrev_b64 v[4:5], 3, v[7:8]
	v_mov_b32_e32 v3, v12
	v_add_nc_u32_e32 v36, 0xa2, v31
	v_add_nc_u32_e32 v37, 0xc6, v31
	v_mad_u64_u32 v[6:7], null, s9, v15, v[3:4]
	v_lshlrev_b64 v[7:8], 3, v[9:10]
	v_mad_u64_u32 v[15:16], null, s8, v17, 0
	v_add_co_u32 v3, vcc_lo, v38, v4
	v_add_nc_u32_e32 v10, 0xb4, v31
	v_mov_b32_e32 v12, v6
	v_add_co_ci_u32_e32 v4, vcc_lo, v39, v5, vcc_lo
	v_add_co_u32 v5, vcc_lo, v38, v7
	v_add_co_ci_u32_e32 v6, vcc_lo, v39, v8, vcc_lo
	v_lshlrev_b64 v[8:9], 3, v[11:12]
	v_mad_u64_u32 v[11:12], null, s8, v10, 0
	v_mov_b32_e32 v7, v16
	v_mad_u64_u32 v[16:17], null, s9, v17, v[7:8]
	v_add_co_u32 v7, vcc_lo, v38, v8
	v_add_co_ci_u32_e32 v8, vcc_lo, v39, v9, vcc_lo
	v_mov_b32_e32 v9, v12
	v_mad_u64_u32 v[17:18], null, s8, v30, 0
	v_lshlrev_b64 v[15:16], 3, v[15:16]
	v_mad_u64_u32 v[19:20], null, s9, v10, v[9:10]
	s_clause 0x3
	global_load_dwordx2 v[1:2], v[1:2], off
	global_load_dwordx2 v[3:4], v[3:4], off
	global_load_dwordx2 v[9:10], v[5:6], off
	global_load_dwordx2 v[5:6], v[7:8], off
	v_mov_b32_e32 v7, v18
	v_add_co_u32 v15, vcc_lo, v38, v15
	v_add_co_ci_u32_e32 v16, vcc_lo, v39, v16, vcc_lo
	v_mov_b32_e32 v12, v19
	v_mad_u64_u32 v[7:8], null, s9, v30, v[7:8]
	v_mad_u64_u32 v[19:20], null, s8, v29, 0
	v_lshlrev_b64 v[11:12], 3, v[11:12]
	v_mov_b32_e32 v18, v7
	v_mov_b32_e32 v7, v20
	v_add_co_u32 v11, vcc_lo, v38, v11
	v_lshlrev_b64 v[17:18], 3, v[17:18]
	v_add_co_ci_u32_e32 v12, vcc_lo, v39, v12, vcc_lo
	v_mad_u64_u32 v[7:8], null, s9, v29, v[7:8]
	v_mov_b32_e32 v8, v22
	v_add_co_u32 v17, vcc_lo, v38, v17
	v_add_co_ci_u32_e32 v18, vcc_lo, v39, v18, vcc_lo
	v_mov_b32_e32 v20, v7
	v_lshlrev_b64 v[19:20], 3, v[19:20]
	v_add_co_u32 v19, vcc_lo, v38, v19
	v_add_co_ci_u32_e32 v20, vcc_lo, v39, v20, vcc_lo
	s_waitcnt vmcnt(1)
	v_mad_u64_u32 v[7:8], null, s9, v25, v[8:9]
	v_mad_u64_u32 v[25:26], null, s8, v36, 0
	v_mov_b32_e32 v8, v24
	v_mov_b32_e32 v22, v7
	v_mad_u64_u32 v[33:34], null, s9, v33, v[8:9]
	v_mad_u64_u32 v[34:35], null, s8, v37, 0
	v_mov_b32_e32 v8, v26
	v_lshlrev_b64 v[21:22], 3, v[21:22]
	v_mov_b32_e32 v24, v33
	v_mad_u64_u32 v[7:8], null, s9, v36, v[8:9]
	v_mov_b32_e32 v8, v35
	v_add_co_u32 v21, vcc_lo, v38, v21
	v_lshlrev_b64 v[23:24], 3, v[23:24]
	v_add_co_ci_u32_e32 v22, vcc_lo, v39, v22, vcc_lo
	v_mad_u64_u32 v[35:36], null, s9, v37, v[8:9]
	v_mov_b32_e32 v26, v7
	v_add_co_u32 v36, vcc_lo, v38, v23
	v_add_co_ci_u32_e32 v37, vcc_lo, v39, v24, vcc_lo
	v_lshlrev_b64 v[7:8], 3, v[25:26]
	v_lshlrev_b64 v[23:24], 3, v[34:35]
	v_add_co_u32 v33, vcc_lo, v38, v7
	v_add_co_ci_u32_e32 v34, vcc_lo, v39, v8, vcc_lo
	v_add_co_u32 v38, vcc_lo, v38, v23
	v_add_co_ci_u32_e32 v39, vcc_lo, v39, v24, vcc_lo
	s_clause 0x7
	global_load_dwordx2 v[25:26], v[15:16], off
	global_load_dwordx2 v[23:24], v[11:12], off
	;; [unrolled: 1-line block ×8, first 2 shown]
.LBB0_10:
	s_waitcnt vmcnt(7)
	v_add_f32_e32 v33, v9, v25
	v_add_f32_e32 v34, v1, v9
	v_sub_f32_e32 v35, v10, v26
	v_add_f32_e32 v36, v10, v26
	v_add_f32_e32 v10, v2, v10
	v_fmac_f32_e32 v1, -0.5, v33
	v_sub_f32_e32 v9, v9, v25
	v_add_f32_e32 v25, v34, v25
	s_waitcnt vmcnt(6)
	v_add_f32_e32 v34, v23, v5
	v_fmac_f32_e32 v2, -0.5, v36
	v_fmamk_f32 v33, v35, 0x3f5db3d7, v1
	v_fmac_f32_e32 v1, 0xbf5db3d7, v35
	v_add_f32_e32 v26, v10, v26
	v_add_f32_e32 v10, v24, v6
	v_add_f32_e32 v35, v3, v5
	v_fmac_f32_e32 v3, -0.5, v34
	v_sub_f32_e32 v34, v6, v24
	v_fmamk_f32 v36, v9, 0xbf5db3d7, v2
	v_add_f32_e32 v6, v4, v6
	v_fmac_f32_e32 v4, -0.5, v10
	v_sub_f32_e32 v5, v5, v23
	v_fmac_f32_e32 v2, 0x3f5db3d7, v9
	v_fmamk_f32 v9, v34, 0x3f5db3d7, v3
	v_fmac_f32_e32 v3, 0xbf5db3d7, v34
	v_add_f32_e32 v34, v23, v35
	v_fmamk_f32 v10, v5, 0xbf5db3d7, v4
	v_fmac_f32_e32 v4, 0x3f5db3d7, v5
	v_mul_f32_e32 v35, 0.5, v9
	v_mul_f32_e32 v37, -0.5, v3
	v_mul_f32_e32 v38, 0xbf5db3d7, v9
	v_add_f32_e32 v6, v24, v6
	v_mul_f32_e32 v39, -0.5, v4
	v_fmac_f32_e32 v35, 0x3f5db3d7, v10
	v_fmac_f32_e32 v37, 0x3f5db3d7, v4
	v_fmac_f32_e32 v38, 0.5, v10
	v_add_f32_e32 v4, v25, v34
	v_fmac_f32_e32 v39, 0xbf5db3d7, v3
	v_add_f32_e32 v9, v33, v35
	v_add_f32_e32 v23, v1, v37
	v_sub_f32_e32 v33, v33, v35
	v_sub_f32_e32 v35, v1, v37
	s_waitcnt vmcnt(1)
	v_add_f32_e32 v1, v21, v19
	v_add_f32_e32 v10, v36, v38
	;; [unrolled: 1-line block ×3, first 2 shown]
	v_sub_f32_e32 v25, v25, v34
	v_sub_f32_e32 v34, v36, v38
	v_add_f32_e32 v3, v7, v21
	v_sub_f32_e32 v36, v2, v39
	v_add_f32_e32 v2, v22, v20
	v_fmac_f32_e32 v7, -0.5, v1
	v_sub_f32_e32 v1, v22, v20
	v_add_f32_e32 v5, v26, v6
	v_sub_f32_e32 v26, v26, v6
	v_add_f32_e32 v6, v3, v19
	v_add_f32_e32 v3, v8, v22
	v_fmac_f32_e32 v8, -0.5, v2
	v_sub_f32_e32 v2, v21, v19
	v_fmamk_f32 v19, v1, 0x3f5db3d7, v7
	v_fmac_f32_e32 v7, 0xbf5db3d7, v1
	s_waitcnt vmcnt(0)
	v_add_f32_e32 v1, v17, v15
	v_add_f32_e32 v21, v3, v20
	v_add_f32_e32 v3, v18, v16
	v_add_f32_e32 v20, v17, v11
	v_fmamk_f32 v22, v2, 0xbf5db3d7, v8
	v_fmac_f32_e32 v11, -0.5, v1
	v_sub_f32_e32 v1, v18, v16
	v_add_f32_e32 v18, v18, v12
	v_fmac_f32_e32 v12, -0.5, v3
	v_sub_f32_e32 v3, v17, v15
	v_fmac_f32_e32 v8, 0x3f5db3d7, v2
	v_fmamk_f32 v2, v1, 0x3f5db3d7, v11
	v_fmac_f32_e32 v11, 0xbf5db3d7, v1
	v_add_f32_e32 v1, v15, v20
	v_fmamk_f32 v15, v3, 0xbf5db3d7, v12
	v_fmac_f32_e32 v12, 0x3f5db3d7, v3
	v_mul_f32_e32 v20, 0.5, v2
	v_mul_f32_e32 v37, -0.5, v11
	v_mul_f32_e32 v39, 0xbf5db3d7, v2
	v_add_f32_e32 v38, v16, v18
	v_mul_f32_e32 v40, -0.5, v12
	v_fmac_f32_e32 v20, 0x3f5db3d7, v15
	v_fmac_f32_e32 v37, 0x3f5db3d7, v12
	v_fmac_f32_e32 v39, 0.5, v15
	v_mov_b32_e32 v15, 3
	v_mul_lo_u16 v41, v31, 43
	v_add_f32_e32 v2, v6, v1
	v_fmac_f32_e32 v40, 0xbf5db3d7, v11
	v_add_f32_e32 v11, v19, v20
	v_add_f32_e32 v16, v7, v37
	v_sub_f32_e32 v6, v6, v1
	v_sub_f32_e32 v18, v19, v20
	;; [unrolled: 1-line block ×3, first 2 shown]
	v_mul_u32_u24_e32 v37, 0x2a0, v31
	v_and_b32_e32 v42, 0xff, v30
	v_lshlrev_b32_sdwa v1, v15, v32 dst_sel:DWORD dst_unused:UNUSED_PAD src0_sel:DWORD src1_sel:WORD_0
	v_add_f32_e32 v3, v21, v38
	v_sub_f32_e32 v7, v21, v38
	v_lshrrev_b16 v38, 8, v41
	v_add_f32_e32 v12, v22, v39
	v_sub_f32_e32 v19, v22, v39
	v_mul_lo_u16 v39, 0xab, v42
	v_add3_u32 v37, 0, v37, v1
	v_and_b32_e32 v32, 0xff, v27
	v_mul_i32_i24_e32 v22, 0x2a0, v30
	v_add_f32_e32 v17, v8, v40
	v_sub_f32_e32 v21, v8, v40
	v_mul_lo_u16 v8, v38, 6
	v_lshrrev_b16 v40, 10, v39
	ds_write2_b64 v37, v[4:5], v[9:10] offset1:14
	v_mul_lo_u16 v5, 0xab, v32
	v_add3_u32 v4, 0, v22, v1
	ds_write2_b64 v37, v[23:24], v[25:26] offset0:28 offset1:42
	v_sub_nc_u16 v26, v31, v8
	v_mul_lo_u16 v8, v40, 6
	ds_write2_b64 v37, v[33:34], v[35:36] offset0:56 offset1:70
	ds_write2_b64 v4, v[2:3], v[11:12] offset1:14
	v_lshrrev_b16 v36, 10, v5
	ds_write2_b64 v4, v[16:17], v[6:7] offset0:28 offset1:42
	v_mul_u32_u24_sdwa v2, v26, v15 dst_sel:DWORD dst_unused:UNUSED_PAD src0_sel:BYTE_0 src1_sel:DWORD
	v_sub_nc_u16 v41, v30, v8
	ds_write2_b64 v4, v[18:19], v[20:21] offset0:56 offset1:70
	v_mul_lo_u16 v3, v36, 6
	s_waitcnt lgkmcnt(0)
	v_lshlrev_b32_e32 v2, 3, v2
	v_mul_u32_u24_sdwa v6, v41, v15 dst_sel:DWORD dst_unused:UNUSED_PAD src0_sel:BYTE_0 src1_sel:DWORD
	s_barrier
	v_sub_nc_u16 v42, v27, v3
	buffer_gl0_inv
	global_load_dwordx4 v[9:12], v2, s[12:13]
	v_lshlrev_b32_e32 v6, 3, v6
	s_clause 0x1
	global_load_dwordx2 v[2:3], v2, s[12:13] offset:16
	global_load_dwordx4 v[20:23], v6, s[12:13]
	v_mul_u32_u24_sdwa v7, v42, v15 dst_sel:DWORD dst_unused:UNUSED_PAD src0_sel:BYTE_0 src1_sel:DWORD
	v_mov_b32_e32 v43, 24
	v_lshrrev_b16 v63, 12, v39
	v_mul_i32_i24_e32 v8, 0x70, v29
	v_mad_i32_i24 v18, 0xfffffdd0, v31, v37
	v_lshlrev_b32_e32 v7, 3, v7
	s_clause 0x2
	global_load_dwordx4 v[32:35], v7, s[12:13]
	global_load_dwordx2 v[24:25], v6, s[12:13] offset:16
	global_load_dwordx2 v[52:53], v7, s[12:13] offset:16
	v_mul_lo_u16 v6, v31, 11
	v_and_b32_e32 v7, 0xff, v29
	v_mul_u32_u24_sdwa v38, v38, v43 dst_sel:DWORD dst_unused:UNUSED_PAD src0_sel:WORD_0 src1_sel:DWORD
	v_mul_lo_u16 v39, v63, 24
	v_add3_u32 v17, 0, v8, v1
	v_lshrrev_b16 v62, 8, v6
	v_mul_lo_u16 v6, 0xab, v7
	v_lshrrev_b16 v64, 12, v5
	v_mul_u32_u24_sdwa v36, v36, v43 dst_sel:DWORD dst_unused:UNUSED_PAD src0_sel:WORD_0 src1_sel:DWORD
	v_or_b32_sdwa v26, v38, v26 dst_sel:DWORD dst_unused:UNUSED_PAD src0_sel:DWORD src1_sel:BYTE_0
	v_mul_lo_u16 v7, v62, 24
	v_lshrrev_b16 v65, 12, v6
	v_sub_nc_u16 v38, v30, v39
	v_mad_i32_i24 v19, 0xfffffdd0, v30, v4
	v_mul_u32_u24_sdwa v4, v40, v43 dst_sel:DWORD dst_unused:UNUSED_PAD src0_sel:WORD_0 src1_sel:DWORD
	v_sub_nc_u16 v37, v31, v7
	v_add_nc_u32_e32 v7, 0x2f40, v18
	v_mul_lo_u16 v40, v64, 24
	v_mul_lo_u16 v43, v65, 24
	v_add_nc_u32_e32 v6, 0x3f00, v18
	v_and_b32_e32 v66, 0xff, v37
	v_or_b32_sdwa v68, v36, v42 dst_sel:DWORD dst_unused:UNUSED_PAD src0_sel:DWORD src1_sel:BYTE_0
	ds_read_b64 v[54:55], v17
	v_and_b32_e32 v69, 0xff, v38
	ds_read2_b64 v[36:39], v7 offset1:252
	v_mul_i32_i24_e32 v16, 0x70, v27
	v_add_nc_u32_e32 v5, 0x1f80, v18
	v_sub_nc_u16 v44, v27, v40
	v_sub_nc_u16 v67, v29, v43
	v_or_b32_sdwa v4, v4, v41 dst_sel:DWORD dst_unused:UNUSED_PAD src0_sel:DWORD src1_sel:BYTE_0
	ds_read2_b64 v[40:43], v6 offset1:252
	v_add3_u32 v16, 0, v16, v1
	v_add_nc_u32_e32 v8, 0x4ec0, v18
	v_and_b32_e32 v71, 0xff, v44
	ds_read2_b64 v[44:47], v5 offset1:252
	ds_read_b64 v[56:57], v19
	ds_read_b64 v[58:59], v16
	;; [unrolled: 1-line block ×3, first 2 shown]
	ds_read2_b64 v[48:51], v8 offset1:252
	v_mul_u32_u24_e32 v26, 0x70, v26
	v_mul_u32_u24_e32 v4, 0x70, v4
	v_mul_u32_u24_e32 v68, 0x70, v68
	v_lshlrev_b32_e32 v70, 4, v66
	s_waitcnt vmcnt(0) lgkmcnt(0)
	v_add3_u32 v26, 0, v26, v1
	v_add3_u32 v4, 0, v4, v1
	;; [unrolled: 1-line block ×3, first 2 shown]
	s_barrier
	buffer_gl0_inv
	v_lshlrev_b32_e32 v72, 4, v69
	v_cmp_gt_u64_e32 vcc_lo, s[14:15], v[13:14]
	s_or_b32 s6, s6, vcc_lo
	v_mul_f32_e32 v73, v10, v55
	v_mul_f32_e32 v10, v10, v54
	;; [unrolled: 1-line block ×5, first 2 shown]
	v_fma_f32 v54, v9, v54, -v73
	v_fmac_f32_e32 v10, v9, v55
	v_mul_f32_e32 v3, v3, v42
	v_mul_f32_e32 v9, v39, v23
	v_fma_f32 v36, v11, v36, -v74
	v_fmac_f32_e32 v12, v11, v37
	v_mul_f32_e32 v11, v38, v23
	v_mul_f32_e32 v23, v21, v45
	;; [unrolled: 1-line block ×4, first 2 shown]
	v_fma_f32 v9, v38, v22, -v9
	v_fmac_f32_e32 v11, v39, v22
	v_mul_f32_e32 v22, v46, v33
	v_mul_f32_e32 v33, v41, v35
	;; [unrolled: 1-line block ×3, first 2 shown]
	v_fma_f32 v38, v2, v42, -v75
	v_fmac_f32_e32 v3, v2, v43
	v_mul_f32_e32 v2, v49, v25
	v_mul_f32_e32 v25, v48, v25
	;; [unrolled: 1-line block ×3, first 2 shown]
	v_fma_f32 v23, v20, v44, -v23
	v_fmac_f32_e32 v21, v20, v45
	v_mul_f32_e32 v20, v50, v53
	v_fma_f32 v37, v46, v32, -v37
	v_fmac_f32_e32 v22, v47, v32
	v_fma_f32 v32, v40, v34, -v33
	v_fmac_f32_e32 v35, v41, v34
	;; [unrolled: 2-line block ×3, first 2 shown]
	v_sub_f32_e32 v34, v60, v36
	v_sub_f32_e32 v12, v61, v12
	;; [unrolled: 1-line block ×4, first 2 shown]
	v_fma_f32 v24, v50, v52, -v39
	v_fmac_f32_e32 v20, v51, v52
	v_fma_f32 v38, v60, 2.0, -v34
	v_fma_f32 v40, v54, 2.0, -v36
	;; [unrolled: 1-line block ×3, first 2 shown]
	v_sub_f32_e32 v2, v34, v2
	v_add_f32_e32 v3, v12, v36
	v_sub_f32_e32 v36, v56, v9
	v_sub_f32_e32 v41, v57, v11
	v_sub_f32_e32 v33, v23, v33
	v_sub_f32_e32 v25, v21, v25
	v_sub_f32_e32 v42, v58, v32
	v_sub_f32_e32 v43, v59, v35
	v_sub_f32_e32 v24, v37, v24
	v_sub_f32_e32 v32, v22, v20
	v_fma_f32 v39, v61, 2.0, -v12
	v_sub_f32_e32 v9, v38, v40
	v_fma_f32 v11, v34, 2.0, -v2
	v_fma_f32 v40, v56, 2.0, -v36
	;; [unrolled: 1-line block ×5, first 2 shown]
	v_sub_f32_e32 v20, v36, v25
	v_fma_f32 v45, v58, 2.0, -v42
	v_fma_f32 v46, v59, 2.0, -v43
	;; [unrolled: 1-line block ×4, first 2 shown]
	v_sub_f32_e32 v10, v39, v10
	v_add_f32_e32 v21, v41, v33
	v_sub_f32_e32 v22, v42, v32
	v_sub_f32_e32 v32, v40, v34
	;; [unrolled: 1-line block ×3, first 2 shown]
	v_add_f32_e32 v23, v43, v24
	v_fma_f32 v34, v36, 2.0, -v20
	v_sub_f32_e32 v36, v45, v37
	v_sub_f32_e32 v37, v46, v47
	v_fma_f32 v12, v12, 2.0, -v3
	v_fma_f32 v24, v38, 2.0, -v9
	;; [unrolled: 1-line block ×10, first 2 shown]
	ds_write2_b64 v26, v[9:10], v[2:3] offset0:168 offset1:252
	ds_write2_b64 v26, v[24:25], v[11:12] offset1:84
	ds_write2_b64 v4, v[32:33], v[20:21] offset0:168 offset1:252
	ds_write2_b64 v4, v[40:41], v[34:35] offset1:84
	ds_write2_b64 v68, v[42:43], v[38:39] offset1:84
	ds_write2_b64 v68, v[36:37], v[22:23] offset0:168 offset1:252
	v_and_b32_e32 v2, 0xff, v67
	v_lshlrev_b32_e32 v3, 4, v71
	s_waitcnt lgkmcnt(0)
	s_barrier
	buffer_gl0_inv
	s_clause 0x1
	global_load_dwordx4 v[9:12], v70, s[12:13] offset:144
	global_load_dwordx4 v[20:23], v72, s[12:13] offset:144
	v_lshlrev_b32_e32 v4, 4, v2
	s_clause 0x1
	global_load_dwordx4 v[32:35], v3, s[12:13] offset:144
	global_load_dwordx4 v[36:39], v4, s[12:13] offset:144
	v_and_b32_e32 v3, 0xffff, v62
	v_and_b32_e32 v4, 0xffff, v63
	;; [unrolled: 1-line block ×4, first 2 shown]
	ds_read2_b64 v[40:43], v5 offset1:252
	ds_read2_b64 v[44:47], v6 offset1:252
	v_mad_u32_u24 v3, 0x48, v3, v66
	v_mad_u32_u24 v4, 0x48, v4, v69
	;; [unrolled: 1-line block ×4, first 2 shown]
	ds_read2_b64 v[48:51], v7 offset1:252
	ds_read2_b64 v[52:55], v8 offset1:252
	v_mul_u32_u24_e32 v3, 0x70, v3
	v_mul_u32_u24_e32 v4, 0x70, v4
	;; [unrolled: 1-line block ×4, first 2 shown]
	v_add3_u32 v26, 0, v3, v1
	v_add3_u32 v58, 0, v4, v1
	;; [unrolled: 1-line block ×4, first 2 shown]
	ds_read_b64 v[1:2], v18
	ds_read_b64 v[3:4], v16
	;; [unrolled: 1-line block ×4, first 2 shown]
	s_waitcnt vmcnt(0) lgkmcnt(0)
	s_barrier
	buffer_gl0_inv
	v_mul_f32_e32 v60, v10, v41
	v_mul_f32_e32 v10, v10, v40
	;; [unrolled: 1-line block ×16, first 2 shown]
	v_fma_f32 v40, v9, v40, -v60
	v_fmac_f32_e32 v10, v9, v41
	v_fma_f32 v9, v11, v44, -v61
	v_fmac_f32_e32 v12, v11, v45
	v_fma_f32 v11, v20, v42, -v62
	v_fmac_f32_e32 v21, v20, v43
	v_fma_f32 v20, v22, v46, -v63
	v_fmac_f32_e32 v23, v22, v47
	v_fma_f32 v22, v32, v48, -v64
	v_fmac_f32_e32 v33, v32, v49
	v_fma_f32 v32, v52, v34, -v65
	v_fmac_f32_e32 v35, v53, v34
	v_fma_f32 v34, v50, v36, -v66
	v_fmac_f32_e32 v37, v51, v36
	v_fma_f32 v36, v54, v38, -v67
	v_fmac_f32_e32 v39, v55, v38
	v_add_f32_e32 v41, v40, v9
	v_add_f32_e32 v44, v10, v12
	;; [unrolled: 1-line block ×3, first 2 shown]
	v_sub_f32_e32 v47, v21, v23
	v_add_f32_e32 v48, v25, v21
	v_add_f32_e32 v21, v21, v23
	v_add_f32_e32 v38, v1, v40
	v_add_f32_e32 v43, v2, v10
	v_add_f32_e32 v51, v22, v32
	v_sub_f32_e32 v52, v33, v35
	v_add_f32_e32 v53, v4, v33
	v_add_f32_e32 v33, v33, v35
	;; [unrolled: 1-line block ×3, first 2 shown]
	v_sub_f32_e32 v60, v37, v39
	v_add_f32_e32 v61, v57, v37
	v_add_f32_e32 v37, v37, v39
	v_sub_f32_e32 v42, v10, v12
	v_sub_f32_e32 v40, v40, v9
	v_add_f32_e32 v45, v24, v11
	v_add_f32_e32 v50, v3, v22
	v_fma_f32 v1, -0.5, v41, v1
	v_fmac_f32_e32 v2, -0.5, v44
	v_sub_f32_e32 v49, v11, v20
	v_fma_f32 v24, -0.5, v46, v24
	v_fmac_f32_e32 v25, -0.5, v21
	v_sub_f32_e32 v54, v22, v32
	v_add_f32_e32 v22, v56, v34
	v_sub_f32_e32 v62, v34, v36
	v_add_f32_e32 v9, v38, v9
	v_add_f32_e32 v10, v43, v12
	v_fma_f32 v3, -0.5, v51, v3
	v_fmac_f32_e32 v4, -0.5, v33
	v_fma_f32 v56, -0.5, v55, v56
	v_fmac_f32_e32 v57, -0.5, v37
	v_add_f32_e32 v11, v45, v20
	v_add_f32_e32 v20, v50, v32
	v_fmamk_f32 v32, v42, 0x3f5db3d7, v1
	v_fmamk_f32 v33, v40, 0xbf5db3d7, v2
	v_fmac_f32_e32 v1, 0xbf5db3d7, v42
	v_fmac_f32_e32 v2, 0x3f5db3d7, v40
	v_add_f32_e32 v12, v48, v23
	v_add_f32_e32 v21, v53, v35
	v_fmamk_f32 v34, v47, 0x3f5db3d7, v24
	v_fmamk_f32 v35, v49, 0xbf5db3d7, v25
	v_add_f32_e32 v22, v22, v36
	v_add_f32_e32 v23, v61, v39
	v_fmac_f32_e32 v24, 0xbf5db3d7, v47
	v_fmac_f32_e32 v25, 0x3f5db3d7, v49
	v_fmamk_f32 v36, v52, 0x3f5db3d7, v3
	v_fmac_f32_e32 v3, 0xbf5db3d7, v52
	v_fmamk_f32 v37, v54, 0xbf5db3d7, v4
	;; [unrolled: 2-line block ×4, first 2 shown]
	v_fmac_f32_e32 v57, 0x3f5db3d7, v62
	ds_write_b64 v26, v[9:10]
	ds_write_b64 v26, v[32:33] offset:2688
	ds_write_b64 v26, v[1:2] offset:5376
	ds_write_b64 v58, v[11:12]
	ds_write_b64 v58, v[34:35] offset:2688
	ds_write_b64 v58, v[24:25] offset:5376
	;; [unrolled: 3-line block ×4, first 2 shown]
	s_waitcnt lgkmcnt(0)
	s_barrier
	buffer_gl0_inv
	s_and_saveexec_b32 s7, s6
	s_cbranch_execz .LBB0_12
; %bb.11:
	v_subrev_nc_u32_e32 v1, 18, v31
	v_cmp_gt_u32_e32 vcc_lo, 0xfc, v0
	v_subrev_nc_u32_e32 v3, 36, v31
	v_mov_b32_e32 v2, 0
	s_load_dwordx2 s[4:5], s[4:5], 0x8
	v_cndmask_b32_e32 v20, v1, v29, vcc_lo
	v_cmp_gt_u32_e32 vcc_lo, 0x1f8, v0
	v_lshlrev_b32_e32 v1, 1, v20
	v_cndmask_b32_e32 v21, v3, v27, vcc_lo
	v_mul_lo_u32 v65, v13, v20
	v_lshlrev_b64 v[3:4], 3, v[1:2]
	v_lshlrev_b32_e32 v1, 1, v21
	v_mul_lo_u32 v66, v13, v21
	v_add_nc_u32_e32 v24, 0x90, v21
	v_add_nc_u32_e32 v21, 0x48, v21
	v_add_co_u32 v3, vcc_lo, s12, v3
	v_lshlrev_b64 v[22:23], 3, v[1:2]
	v_add_co_ci_u32_e32 v4, vcc_lo, s13, v4, vcc_lo
	v_subrev_nc_u32_e32 v1, 54, v31
	v_mul_lo_u32 v71, v13, v24
	v_bfe_u32 v24, v66, 8, 8
	global_load_dwordx4 v[9:12], v[3:4], off offset:528
	v_add_co_u32 v3, vcc_lo, s12, v22
	v_add_co_ci_u32_e32 v4, vcc_lo, s13, v23, vcc_lo
	v_cmp_gt_u32_e32 vcc_lo, 0x2f4, v0
	v_add_nc_u32_e32 v23, 0x90, v20
	v_add_nc_u32_e32 v20, 0x48, v20
	global_load_dwordx4 v[33:36], v[3:4], off offset:528
	v_lshlrev_b32_sdwa v25, v15, v66 dst_sel:DWORD dst_unused:UNUSED_PAD src0_sel:DWORD src1_sel:BYTE_0
	v_cndmask_b32_e32 v22, v1, v30, vcc_lo
	v_mul_lo_u32 v69, v13, v23
	v_mul_lo_u32 v70, v13, v20
	v_bfe_u32 v20, v65, 8, 8
	v_lshlrev_b32_sdwa v23, v15, v65 dst_sel:DWORD dst_unused:UNUSED_PAD src0_sel:DWORD src1_sel:BYTE_0
	v_lshlrev_b32_e32 v1, 1, v22
	v_mul_lo_u32 v67, v13, v22
	v_bfe_u32 v74, v71, 8, 8
	v_lshl_or_b32 v20, v20, 3, 0x800
	v_bfe_u32 v72, v69, 8, 8
	v_lshlrev_b64 v[3:4], 3, v[1:2]
	v_add_nc_u32_e32 v1, 0xffffffb8, v31
	v_lshlrev_b32_sdwa v73, v15, v69 dst_sel:DWORD dst_unused:UNUSED_PAD src0_sel:DWORD src1_sel:BYTE_0
	v_lshlrev_b32_sdwa v75, v15, v71 dst_sel:DWORD dst_unused:UNUSED_PAD src0_sel:DWORD src1_sel:BYTE_0
	v_bfe_u32 v26, v67, 8, 8
	v_bfe_u32 v69, v69, 16, 8
	v_add_co_u32 v3, vcc_lo, s12, v3
	v_add_co_ci_u32_e32 v4, vcc_lo, s13, v4, vcc_lo
	v_cmp_gt_u32_e32 vcc_lo, 0x3f0, v0
	global_load_dwordx4 v[37:40], v[3:4], off offset:528
	v_cndmask_b32_e32 v14, v1, v31, vcc_lo
	v_lshlrev_b32_sdwa v31, v15, v67 dst_sel:DWORD dst_unused:UNUSED_PAD src0_sel:DWORD src1_sel:BYTE_0
	v_lshlrev_b32_e32 v1, 1, v14
	v_mul_lo_u32 v68, v13, v14
	v_lshlrev_b64 v[1:2], 3, v[1:2]
	v_lshlrev_b32_sdwa v32, v15, v68 dst_sel:DWORD dst_unused:UNUSED_PAD src0_sel:DWORD src1_sel:BYTE_0
	v_bfe_u32 v61, v68, 8, 8
	v_add_co_u32 v1, vcc_lo, s12, v1
	v_add_co_ci_u32_e32 v2, vcc_lo, s13, v2, vcc_lo
	v_cmp_lt_u32_e32 vcc_lo, 0x3ef, v0
	global_load_dwordx4 v[1:4], v[1:2], off offset:528
	ds_read2_b64 v[41:44], v7 offset1:252
	ds_read2_b64 v[45:48], v8 offset1:252
	;; [unrolled: 1-line block ×4, first 2 shown]
	s_waitcnt lgkmcnt(0)
	s_clause 0x1
	global_load_dwordx2 v[53:54], v23, s[4:5]
	global_load_dwordx2 v[55:56], v25, s[4:5]
	v_lshl_or_b32 v23, v24, 3, 0x800
	s_clause 0x1
	global_load_dwordx2 v[57:58], v20, s[4:5]
	global_load_dwordx2 v[59:60], v31, s[4:5]
	v_lshl_or_b32 v24, v26, 3, 0x800
	v_lshl_or_b32 v20, v61, 3, 0x800
	s_clause 0x1
	global_load_dwordx2 v[61:62], v32, s[4:5]
	global_load_dwordx2 v[63:64], v23, s[4:5]
	s_waitcnt vmcnt(9)
	v_mul_f32_e32 v23, v44, v10
	v_mul_f32_e32 v31, v43, v10
	;; [unrolled: 1-line block ×4, first 2 shown]
	v_bfe_u32 v10, v70, 8, 8
	v_fma_f32 v32, v43, v9, -v23
	v_fmac_f32_e32 v31, v44, v9
	global_load_dwordx2 v[43:44], v24, s[4:5]
	s_waitcnt vmcnt(9)
	v_mul_f32_e32 v9, v34, v42
	v_mul_f32_e32 v23, v34, v41
	v_fma_f32 v26, v47, v11, -v26
	v_fmac_f32_e32 v25, v48, v11
	v_mul_f32_e32 v11, v45, v36
	v_fma_f32 v24, v33, v41, -v9
	v_fmac_f32_e32 v23, v33, v42
	global_load_dwordx2 v[33:34], v20, s[4:5]
	v_mul_f32_e32 v9, v46, v36
	v_lshl_or_b32 v20, v72, 3, 0x800
	v_lshlrev_b32_sdwa v12, v15, v70 dst_sel:DWORD dst_unused:UNUSED_PAD src0_sel:DWORD src1_sel:BYTE_0
	v_lshl_or_b32 v47, v10, 3, 0x800
	v_fmac_f32_e32 v11, v46, v35
	v_fma_f32 v10, v45, v35, -v9
	s_clause 0x3
	global_load_dwordx2 v[35:36], v73, s[4:5]
	global_load_dwordx2 v[41:42], v20, s[4:5]
	;; [unrolled: 1-line block ×4, first 2 shown]
	s_waitcnt vmcnt(13)
	v_mul_f32_e32 v20, v38, v52
	v_mul_f32_e32 v72, v40, v8
	;; [unrolled: 1-line block ×4, first 2 shown]
	v_lshl_or_b32 v40, v74, 3, 0x800
	v_fma_f32 v20, v37, v51, -v20
	v_fma_f32 v7, v39, v7, -v72
	v_fmac_f32_e32 v12, v37, v52
	v_fmac_f32_e32 v9, v39, v8
	s_clause 0x1
	global_load_dwordx2 v[37:38], v75, s[4:5]
	global_load_dwordx2 v[39:40], v40, s[4:5]
	v_mul_lo_u32 v51, v13, v21
	v_bfe_u32 v21, v65, 16, 8
	v_bfe_u32 v52, v68, 16, 8
	s_waitcnt vmcnt(14)
	v_mul_f32_e32 v8, v2, v50
	v_mul_f32_e32 v2, v2, v49
	v_fma_f32 v8, v1, v49, -v8
	v_fmac_f32_e32 v2, v1, v50
	v_add_nc_u32_e32 v1, 0x90, v22
	v_mul_f32_e32 v49, v4, v6
	s_waitcnt vmcnt(11)
	v_mul_f32_e32 v75, v53, v58
	v_add_nc_u32_e32 v22, 0x48, v22
	v_bfe_u32 v50, v51, 8, 8
	v_mul_lo_u32 v72, v13, v1
	v_mul_f32_e32 v1, v4, v5
	v_bfe_u32 v4, v67, 16, 8
	v_mul_lo_u32 v73, v13, v22
	v_bfe_u32 v22, v66, 16, 8
	v_fma_f32 v65, v3, v5, -v49
	v_fmac_f32_e32 v1, v3, v6
	v_mul_f32_e32 v6, v54, v58
	v_bfe_u32 v58, v70, 16, 8
	v_bfe_u32 v70, v71, 16, 8
	v_lshlrev_b32_sdwa v5, v15, v51 dst_sel:DWORD dst_unused:UNUSED_PAD src0_sel:DWORD src1_sel:BYTE_0
	v_lshl_or_b32 v3, v21, 3, 0x1000
	v_fma_f32 v71, v53, v57, -v6
	s_waitcnt vmcnt(8)
	v_mul_f32_e32 v53, v56, v64
	v_mul_f32_e32 v64, v55, v64
	v_lshl_or_b32 v21, v50, 3, 0x800
	v_bfe_u32 v66, v72, 8, 8
	v_lshl_or_b32 v49, v22, 3, 0x1000
	v_fma_f32 v76, v55, v63, -v53
	v_fmac_f32_e32 v64, v56, v63
	v_fmac_f32_e32 v75, v54, v57
	v_bfe_u32 v57, v51, 16, 8
	v_lshl_or_b32 v74, v4, 3, 0x1000
	s_clause 0x3
	global_load_dwordx2 v[3:4], v3, s[4:5]
	global_load_dwordx2 v[5:6], v5, s[4:5]
	;; [unrolled: 1-line block ×4, first 2 shown]
	v_lshlrev_b32_sdwa v67, v15, v72 dst_sel:DWORD dst_unused:UNUSED_PAD src0_sel:DWORD src1_sel:BYTE_0
	v_lshl_or_b32 v54, v52, 3, 0x1000
	v_lshl_or_b32 v66, v66, 3, 0x800
	;; [unrolled: 1-line block ×4, first 2 shown]
	v_bfe_u32 v68, v73, 8, 8
	s_clause 0x1
	global_load_dwordx2 v[51:52], v74, s[4:5]
	global_load_dwordx2 v[53:54], v54, s[4:5]
	s_waitcnt vmcnt(13)
	v_mul_f32_e32 v63, v59, v44
	v_mul_f32_e32 v55, v60, v44
	v_lshl_or_b32 v44, v58, 3, 0x1000
	v_fmac_f32_e32 v63, v60, v43
	v_fma_f32 v59, v59, v43, -v55
	s_clause 0x1
	global_load_dwordx2 v[43:44], v44, s[4:5]
	global_load_dwordx2 v[55:56], v56, s[4:5]
	s_waitcnt vmcnt(14)
	v_mul_f32_e32 v58, v62, v34
	v_mul_f32_e32 v60, v61, v34
	v_fma_f32 v61, v61, v33, -v58
	v_fmac_f32_e32 v60, v62, v33
	s_waitcnt vmcnt(12)
	v_mul_f32_e32 v33, v36, v42
	v_mul_f32_e32 v62, v35, v42
	v_lshl_or_b32 v42, v57, 3, 0x1000
	s_waitcnt vmcnt(10)
	v_mul_f32_e32 v70, v46, v48
	v_mul_f32_e32 v48, v45, v48
	v_fma_f32 v74, v35, v41, -v33
	v_fmac_f32_e32 v62, v36, v41
	s_clause 0x3
	global_load_dwordx2 v[33:34], v67, s[4:5]
	global_load_dwordx2 v[35:36], v66, s[4:5]
	;; [unrolled: 1-line block ×4, first 2 shown]
	v_fma_f32 v45, v45, v47, -v70
	v_fmac_f32_e32 v48, v46, v47
	v_lshl_or_b32 v66, v68, 3, 0x800
	v_bfe_u32 v67, v72, 16, 8
	v_add_nc_u32_e32 v68, 0x90, v14
	s_waitcnt vmcnt(12)
	v_mul_f32_e32 v46, v38, v40
	v_mul_f32_e32 v47, v37, v40
	v_lshlrev_b32_sdwa v40, v15, v73 dst_sel:DWORD dst_unused:UNUSED_PAD src0_sel:DWORD src1_sel:BYTE_0
	v_fma_f32 v46, v37, v39, -v46
	v_fmac_f32_e32 v47, v38, v39
	s_clause 0x1
	global_load_dwordx2 v[37:38], v40, s[4:5]
	global_load_dwordx2 v[39:40], v66, s[4:5]
	v_bfe_u32 v66, v73, 16, 8
	s_waitcnt vmcnt(11)
	v_mul_f32_e32 v69, v6, v22
	v_mul_f32_e32 v70, v5, v22
	v_lshl_or_b32 v22, v66, 3, 0x1000
	v_lshl_or_b32 v66, v67, 3, 0x1000
	v_mul_lo_u32 v67, v13, v68
	v_fma_f32 v68, v5, v21, -v69
	v_fmac_f32_e32 v70, v6, v21
	s_clause 0x1
	global_load_dwordx2 v[5:6], v22, s[4:5]
	global_load_dwordx2 v[21:22], v66, s[4:5]
	s_waitcnt vmcnt(6)
	v_mul_f32_e32 v66, v34, v36
	v_mul_f32_e32 v69, v33, v36
	v_fma_f32 v66, v33, v35, -v66
	v_bfe_u32 v33, v67, 8, 8
	v_fmac_f32_e32 v69, v34, v35
	v_lshlrev_b32_sdwa v35, v15, v67 dst_sel:DWORD dst_unused:UNUSED_PAD src0_sel:DWORD src1_sel:BYTE_0
	v_lshl_or_b32 v36, v33, 3, 0x800
	s_waitcnt vmcnt(2)
	v_mul_f32_e32 v34, v38, v40
	v_mul_f32_e32 v72, v37, v40
	v_fma_f32 v73, v37, v39, -v34
	s_clause 0x1
	global_load_dwordx2 v[33:34], v35, s[4:5]
	global_load_dwordx2 v[35:36], v36, s[4:5]
	v_add_nc_u32_e32 v37, 0x48, v14
	v_fmac_f32_e32 v72, v38, v39
	v_bfe_u32 v38, v67, 16, 8
	v_mul_lo_u32 v13, v13, v37
	v_lshl_or_b32 v39, v38, 3, 0x1000
	v_bfe_u32 v37, v13, 16, 8
	v_lshl_or_b32 v37, v37, 3, 0x1000
	s_clause 0x1
	global_load_dwordx2 v[37:38], v37, s[4:5]
	global_load_dwordx2 v[39:40], v39, s[4:5]
	s_waitcnt vmcnt(2)
	v_mul_f32_e32 v67, v34, v36
	v_mul_f32_e32 v77, v33, v36
	v_fma_f32 v67, v33, v35, -v67
	v_bfe_u32 v33, v13, 8, 8
	v_lshlrev_b32_sdwa v13, v15, v13 dst_sel:DWORD dst_unused:UNUSED_PAD src0_sel:DWORD src1_sel:BYTE_0
	v_fmac_f32_e32 v77, v34, v35
	v_lshl_or_b32 v15, v33, 3, 0x800
	s_clause 0x1
	global_load_dwordx2 v[33:34], v13, s[4:5]
	global_load_dwordx2 v[35:36], v15, s[4:5]
	s_waitcnt vmcnt(0)
	v_mul_f32_e32 v13, v34, v36
	v_mul_f32_e32 v36, v33, v36
	v_fma_f32 v78, v33, v35, -v13
	v_fmac_f32_e32 v36, v34, v35
	v_mul_f32_e32 v13, v75, v4
	v_mul_f32_e32 v35, v71, v4
	v_fma_f32 v71, v3, v71, -v13
	v_fmac_f32_e32 v35, v3, v75
	ds_read_b64 v[3:4], v17
	v_mul_f32_e32 v13, v64, v50
	v_mul_f32_e32 v50, v76, v50
	ds_read_b64 v[15:16], v16
	ds_read_b64 v[33:34], v19
	v_mul_f32_e32 v19, v59, v52
	v_cndmask_b32_e64 v17, 0, 0xd8, vcc_lo
	v_fma_f32 v75, v49, v76, -v13
	v_mul_f32_e32 v76, v63, v52
	v_fmac_f32_e32 v50, v49, v64
	v_fmac_f32_e32 v19, v51, v63
	v_add_nc_u32_e32 v49, v14, v17
	ds_read_b64 v[13:14], v18
	v_fma_f32 v52, v51, v59, -v76
	v_mul_f32_e32 v59, v62, v56
	v_mul_f32_e32 v51, v74, v56
	;; [unrolled: 1-line block ×3, first 2 shown]
	v_mad_u64_u32 v[17:18], null, s0, v28, 0
	v_fma_f32 v56, v55, v74, -v59
	v_add_f32_e32 v59, v31, v25
	v_fmac_f32_e32 v51, v55, v62
	v_add_f32_e32 v55, v32, v26
	s_waitcnt lgkmcnt(3)
	v_add_f32_e32 v62, v4, v31
	v_add_f32_e32 v63, v3, v32
	v_sub_f32_e32 v31, v31, v25
	v_fma_f32 v59, -0.5, v59, v4
	v_fma_f32 v55, -0.5, v55, v3
	v_mul_f32_e32 v3, v48, v44
	v_add_f32_e32 v4, v62, v25
	v_mul_f32_e32 v25, v45, v44
	v_sub_f32_e32 v32, v32, v26
	v_mul_f32_e32 v44, v60, v54
	v_fma_f32 v45, v43, v45, -v3
	v_mul_f32_e32 v3, v47, v58
	v_fmac_f32_e32 v25, v43, v48
	v_mul_f32_e32 v43, v46, v58
	v_add_f32_e32 v48, v23, v11
	v_add_f32_e32 v54, v24, v10
	v_fma_f32 v46, v57, v46, -v3
	s_waitcnt lgkmcnt(2)
	v_add_f32_e32 v3, v16, v23
	v_fmac_f32_e32 v43, v57, v47
	v_mul_f32_e32 v47, v70, v42
	v_mul_f32_e32 v42, v68, v42
	;; [unrolled: 1-line block ×4, first 2 shown]
	v_add_f32_e32 v57, v15, v24
	v_sub_f32_e32 v23, v23, v11
	v_sub_f32_e32 v24, v24, v10
	v_fma_f32 v47, v41, v68, -v47
	v_fmac_f32_e32 v42, v41, v70
	v_mul_f32_e32 v41, v72, v6
	v_mul_f32_e32 v62, v73, v6
	v_fma_f32 v16, -0.5, v48, v16
	v_fma_f32 v48, -0.5, v54, v15
	v_mul_f32_e32 v6, v77, v40
	v_fmamk_f32 v54, v32, 0x3f5db3d7, v59
	v_fmac_f32_e32 v59, 0xbf5db3d7, v32
	v_fmamk_f32 v32, v31, 0xbf5db3d7, v55
	v_fmac_f32_e32 v55, 0x3f5db3d7, v31
	v_mul_f32_e32 v31, v67, v40
	v_add_f32_e32 v11, v3, v11
	v_mul_f32_e32 v3, v36, v38
	v_fma_f32 v40, v21, v66, -v58
	v_mul_f32_e32 v38, v78, v38
	v_fmac_f32_e32 v22, v21, v69
	v_add_f32_e32 v15, v12, v9
	v_add_f32_e32 v21, v20, v7
	;; [unrolled: 1-line block ×4, first 2 shown]
	s_waitcnt lgkmcnt(1)
	v_add_f32_e32 v57, v34, v12
	v_add_f32_e32 v58, v33, v20
	v_sub_f32_e32 v20, v20, v7
	v_fma_f32 v63, v39, v67, -v6
	v_fmac_f32_e32 v31, v39, v77
	v_fma_f32 v39, v37, v78, -v3
	v_fmac_f32_e32 v38, v37, v36
	v_mul_f32_e32 v6, v4, v35
	v_fma_f32 v34, -0.5, v15, v34
	v_fma_f32 v21, -0.5, v21, v33
	v_fmamk_f32 v33, v24, 0x3f5db3d7, v16
	v_fmac_f32_e32 v16, 0xbf5db3d7, v24
	v_fmamk_f32 v24, v23, 0xbf5db3d7, v48
	v_fmac_f32_e32 v48, 0x3f5db3d7, v23
	v_add_f32_e32 v36, v2, v1
	v_add_f32_e32 v37, v8, v65
	v_fma_f32 v41, v5, v73, -v41
	v_fmac_f32_e32 v62, v5, v72
	v_mul_f32_e32 v5, v10, v50
	v_sub_f32_e32 v12, v12, v9
	v_mul_f32_e32 v3, v26, v35
	v_add_f32_e32 v23, v57, v9
	v_add_f32_e32 v35, v58, v7
	v_mul_f32_e32 v15, v11, v50
	s_waitcnt lgkmcnt(0)
	v_add_f32_e32 v50, v13, v8
	v_add_f32_e32 v57, v14, v2
	v_sub_f32_e32 v58, v8, v65
	v_sub_f32_e32 v66, v2, v1
	v_fma_f32 v2, v26, v71, -v6
	v_mul_f32_e32 v6, v54, v51
	v_mul_f32_e32 v8, v59, v25
	;; [unrolled: 1-line block ×3, first 2 shown]
	v_fma_f32 v25, -0.5, v36, v14
	v_fma_f32 v37, -0.5, v37, v13
	v_mul_f32_e32 v13, v48, v42
	v_fmamk_f32 v26, v20, 0x3f5db3d7, v34
	v_fmac_f32_e32 v5, v11, v75
	v_mul_f32_e32 v11, v24, v43
	v_fmac_f32_e32 v3, v4, v71
	v_mul_f32_e32 v7, v32, v51
	v_fma_f32 v4, v10, v75, -v15
	v_fmac_f32_e32 v34, 0xbf5db3d7, v20
	v_mul_f32_e32 v14, v16, v42
	v_mul_f32_e32 v15, v35, v19
	v_fmamk_f32 v36, v12, 0xbf5db3d7, v21
	v_mul_f32_e32 v19, v23, v19
	v_fma_f32 v6, v32, v56, -v6
	v_fmac_f32_e32 v13, v16, v47
	v_mul_f32_e32 v16, v26, v22
	v_fmamk_f32 v32, v58, 0x3f5db3d7, v25
	v_mul_f32_e32 v10, v33, v43
	v_fmac_f32_e32 v11, v33, v46
	v_fmamk_f32 v33, v66, 0xbf5db3d7, v37
	v_fmac_f32_e32 v21, 0x3f5db3d7, v12
	v_fma_f32 v12, v48, v47, -v14
	v_fmac_f32_e32 v15, v23, v52
	v_fma_f32 v14, v35, v52, -v19
	v_mul_f32_e32 v23, v34, v62
	v_fma_f32 v19, v36, v40, -v16
	v_mul_f32_e32 v16, v32, v31
	v_mul_f32_e32 v20, v36, v22
	v_fma_f32 v10, v24, v46, -v10
	v_mul_f32_e32 v24, v33, v31
	v_mul_f32_e32 v22, v21, v62
	v_fma_f32 v21, v21, v41, -v23
	v_fma_f32 v23, v33, v63, -v16
	v_mov_b32_e32 v16, v18
	v_fmac_f32_e32 v20, v26, v40
	v_add_f32_e32 v40, v50, v65
	v_fmac_f32_e32 v64, v53, v60
	v_fmac_f32_e32 v24, v32, v63
	v_mad_u64_u32 v[31:32], null, s8, v49, 0
	v_mad_u64_u32 v[35:36], null, s1, v28, v[16:17]
	v_fmac_f32_e32 v22, v34, v41
	v_add_f32_e32 v18, v57, v1
	v_fma_f32 v41, v53, v61, -v44
	v_mul_f32_e32 v34, v40, v64
	v_mov_b32_e32 v1, v32
	v_fmac_f32_e32 v25, 0xbf5db3d7, v58
	v_mul_f32_e32 v16, v18, v64
	v_fmac_f32_e32 v37, 0x3f5db3d7, v66
	v_fmac_f32_e32 v34, v18, v41
	v_mov_b32_e32 v18, v35
	v_mad_u64_u32 v[32:33], null, s9, v49, v[1:2]
	v_fma_f32 v33, v40, v41, -v16
	v_mul_f32_e32 v26, v37, v38
	v_lshlrev_b64 v[16:17], 3, v[17:18]
	v_mul_f32_e32 v38, v25, v38
	v_add_nc_u32_e32 v28, 0x48, v49
	s_lshl_b64 s[0:1], s[2:3], 3
	v_fmac_f32_e32 v26, v25, v39
	s_add_u32 s0, s10, s0
	v_fma_f32 v25, v37, v39, -v38
	v_mad_u64_u32 v[35:36], null, s8, v28, 0
	s_addc_u32 s1, s11, s1
	v_add_co_u32 v39, vcc_lo, s0, v16
	v_add_co_ci_u32_e32 v40, vcc_lo, s1, v17, vcc_lo
	v_lshlrev_b64 v[16:17], 3, v[31:32]
	v_add_nc_u32_e32 v18, 0x90, v49
	v_mov_b32_e32 v1, v36
	v_fma_f32 v8, v55, v45, -v8
	v_fmac_f32_e32 v9, v59, v45
	v_fmac_f32_e32 v7, v54, v56
	v_add_co_u32 v16, vcc_lo, v39, v16
	v_add_co_ci_u32_e32 v17, vcc_lo, v40, v17, vcc_lo
	v_cmp_lt_u32_e32 vcc_lo, 0x2f3, v0
	v_mad_u64_u32 v[37:38], null, s8, v18, 0
	v_mad_u64_u32 v[31:32], null, s9, v28, v[1:2]
	v_cndmask_b32_e64 v28, 0, 0x90, vcc_lo
	global_store_dwordx2 v[16:17], v[33:34], off
	v_mov_b32_e32 v1, v38
	v_add_nc_u32_e32 v28, v30, v28
	v_mov_b32_e32 v36, v31
	v_mad_u64_u32 v[30:31], null, s9, v18, v[1:2]
	v_lshlrev_b64 v[16:17], 3, v[35:36]
	v_mad_u64_u32 v[31:32], null, s8, v28, 0
	v_add_nc_u32_e32 v18, 0x48, v28
	v_add_co_u32 v16, vcc_lo, v39, v16
	v_add_co_ci_u32_e32 v17, vcc_lo, v40, v17, vcc_lo
	v_mov_b32_e32 v38, v30
	v_mad_u64_u32 v[33:34], null, s8, v18, 0
	v_mov_b32_e32 v1, v32
	v_add_nc_u32_e32 v30, 0x90, v28
	v_cmp_lt_u32_e32 vcc_lo, 0x1f7, v0
	global_store_dwordx2 v[16:17], v[25:26], off
	v_lshlrev_b64 v[16:17], 3, v[37:38]
	v_mad_u64_u32 v[25:26], null, s9, v28, v[1:2]
	v_mad_u64_u32 v[35:36], null, s8, v30, 0
	v_mov_b32_e32 v1, v34
	v_cndmask_b32_e64 v26, 0, 0x90, vcc_lo
	v_add_co_u32 v16, vcc_lo, v39, v16
	v_add_co_ci_u32_e32 v17, vcc_lo, v40, v17, vcc_lo
	v_mov_b32_e32 v32, v25
	v_add_nc_u32_e32 v37, v27, v26
	v_mad_u64_u32 v[25:26], null, s9, v18, v[1:2]
	v_mov_b32_e32 v1, v36
	global_store_dwordx2 v[16:17], v[23:24], off
	v_lshlrev_b64 v[16:17], 3, v[31:32]
	v_mad_u64_u32 v[26:27], null, s8, v37, 0
	v_mad_u64_u32 v[23:24], null, s9, v30, v[1:2]
	v_mov_b32_e32 v34, v25
	v_add_co_u32 v16, vcc_lo, v39, v16
	v_add_co_ci_u32_e32 v17, vcc_lo, v40, v17, vcc_lo
	v_mov_b32_e32 v1, v27
	v_mov_b32_e32 v36, v23
	v_lshlrev_b64 v[23:24], 3, v[33:34]
	global_store_dwordx2 v[16:17], v[14:15], off
	v_add_nc_u32_e32 v18, 0x48, v37
	v_mad_u64_u32 v[27:28], null, s9, v37, v[1:2]
	v_lshlrev_b64 v[14:15], 3, v[35:36]
	v_add_co_u32 v16, vcc_lo, v39, v23
	v_add_co_ci_u32_e32 v17, vcc_lo, v40, v24, vcc_lo
	v_mad_u64_u32 v[23:24], null, s8, v18, 0
	v_add_co_u32 v14, vcc_lo, v39, v14
	v_add_co_ci_u32_e32 v15, vcc_lo, v40, v15, vcc_lo
	v_cmp_lt_u32_e32 vcc_lo, 0xfb, v0
	global_store_dwordx2 v[16:17], v[21:22], off
	v_lshlrev_b64 v[16:17], 3, v[26:27]
	global_store_dwordx2 v[14:15], v[19:20], off
	v_mov_b32_e32 v1, v24
	v_cndmask_b32_e64 v19, 0, 0x90, vcc_lo
	v_add_nc_u32_e32 v20, 0x90, v37
	v_add_co_u32 v14, vcc_lo, v39, v16
	v_add_co_ci_u32_e32 v15, vcc_lo, v40, v17, vcc_lo
	v_add_nc_u32_e32 v21, v29, v19
	v_mad_u64_u32 v[0:1], null, s9, v18, v[1:2]
	v_mad_u64_u32 v[16:17], null, s8, v20, 0
	global_store_dwordx2 v[14:15], v[4:5], off
	v_mad_u64_u32 v[4:5], null, s8, v21, 0
	v_add_nc_u32_e32 v25, 0x48, v21
	v_mov_b32_e32 v24, v0
	v_mov_b32_e32 v0, v17
	v_mad_u64_u32 v[14:15], null, s8, v25, 0
	v_mov_b32_e32 v1, v5
	v_lshlrev_b64 v[17:18], 3, v[23:24]
	v_add_nc_u32_e32 v24, 0x90, v21
	v_mad_u64_u32 v[19:20], null, s9, v20, v[0:1]
	v_mad_u64_u32 v[0:1], null, s9, v21, v[1:2]
	v_mad_u64_u32 v[20:21], null, s8, v24, 0
	v_mov_b32_e32 v1, v15
	v_add_co_u32 v22, vcc_lo, v39, v17
	v_add_co_ci_u32_e32 v23, vcc_lo, v40, v18, vcc_lo
	v_mov_b32_e32 v5, v0
	v_mad_u64_u32 v[0:1], null, s9, v25, v[1:2]
	v_mov_b32_e32 v17, v19
	v_mov_b32_e32 v1, v21
	global_store_dwordx2 v[22:23], v[12:13], off
	v_lshlrev_b64 v[4:5], 3, v[4:5]
	v_lshlrev_b64 v[12:13], 3, v[16:17]
	v_mad_u64_u32 v[16:17], null, s9, v24, v[1:2]
	v_mov_b32_e32 v15, v0
	v_add_co_u32 v0, vcc_lo, v39, v12
	v_add_co_ci_u32_e32 v1, vcc_lo, v40, v13, vcc_lo
	v_mov_b32_e32 v21, v16
	v_lshlrev_b64 v[12:13], 3, v[14:15]
	v_add_co_u32 v4, vcc_lo, v39, v4
	v_add_co_ci_u32_e32 v5, vcc_lo, v40, v5, vcc_lo
	v_lshlrev_b64 v[14:15], 3, v[20:21]
	v_add_co_u32 v12, vcc_lo, v39, v12
	v_add_co_ci_u32_e32 v13, vcc_lo, v40, v13, vcc_lo
	v_add_co_u32 v14, vcc_lo, v39, v14
	v_add_co_ci_u32_e32 v15, vcc_lo, v40, v15, vcc_lo
	global_store_dwordx2 v[0:1], v[10:11], off
	global_store_dwordx2 v[4:5], v[2:3], off
	;; [unrolled: 1-line block ×4, first 2 shown]
.LBB0_12:
	s_endpgm
	.section	.rodata,"a",@progbits
	.p2align	6, 0x0
	.amdhsa_kernel fft_rtc_fwd_len216_factors_6_4_3_3_wgs_252_tpt_18_dim2_sp_ip_CI_sbcc_twdbase8_3step_dirReg
		.amdhsa_group_segment_fixed_size 0
		.amdhsa_private_segment_fixed_size 0
		.amdhsa_kernarg_size 88
		.amdhsa_user_sgpr_count 6
		.amdhsa_user_sgpr_private_segment_buffer 1
		.amdhsa_user_sgpr_dispatch_ptr 0
		.amdhsa_user_sgpr_queue_ptr 0
		.amdhsa_user_sgpr_kernarg_segment_ptr 1
		.amdhsa_user_sgpr_dispatch_id 0
		.amdhsa_user_sgpr_flat_scratch_init 0
		.amdhsa_user_sgpr_private_segment_size 0
		.amdhsa_wavefront_size32 1
		.amdhsa_uses_dynamic_stack 0
		.amdhsa_system_sgpr_private_segment_wavefront_offset 0
		.amdhsa_system_sgpr_workgroup_id_x 1
		.amdhsa_system_sgpr_workgroup_id_y 0
		.amdhsa_system_sgpr_workgroup_id_z 0
		.amdhsa_system_sgpr_workgroup_info 0
		.amdhsa_system_vgpr_workitem_id 0
		.amdhsa_next_free_vgpr 79
		.amdhsa_next_free_sgpr 23
		.amdhsa_reserve_vcc 1
		.amdhsa_reserve_flat_scratch 0
		.amdhsa_float_round_mode_32 0
		.amdhsa_float_round_mode_16_64 0
		.amdhsa_float_denorm_mode_32 3
		.amdhsa_float_denorm_mode_16_64 3
		.amdhsa_dx10_clamp 1
		.amdhsa_ieee_mode 1
		.amdhsa_fp16_overflow 0
		.amdhsa_workgroup_processor_mode 1
		.amdhsa_memory_ordered 1
		.amdhsa_forward_progress 0
		.amdhsa_shared_vgpr_count 0
		.amdhsa_exception_fp_ieee_invalid_op 0
		.amdhsa_exception_fp_denorm_src 0
		.amdhsa_exception_fp_ieee_div_zero 0
		.amdhsa_exception_fp_ieee_overflow 0
		.amdhsa_exception_fp_ieee_underflow 0
		.amdhsa_exception_fp_ieee_inexact 0
		.amdhsa_exception_int_div_zero 0
	.end_amdhsa_kernel
	.text
.Lfunc_end0:
	.size	fft_rtc_fwd_len216_factors_6_4_3_3_wgs_252_tpt_18_dim2_sp_ip_CI_sbcc_twdbase8_3step_dirReg, .Lfunc_end0-fft_rtc_fwd_len216_factors_6_4_3_3_wgs_252_tpt_18_dim2_sp_ip_CI_sbcc_twdbase8_3step_dirReg
                                        ; -- End function
	.section	.AMDGPU.csdata,"",@progbits
; Kernel info:
; codeLenInByte = 8348
; NumSgprs: 25
; NumVgprs: 79
; ScratchSize: 0
; MemoryBound: 0
; FloatMode: 240
; IeeeMode: 1
; LDSByteSize: 0 bytes/workgroup (compile time only)
; SGPRBlocks: 3
; VGPRBlocks: 9
; NumSGPRsForWavesPerEU: 25
; NumVGPRsForWavesPerEU: 79
; Occupancy: 12
; WaveLimiterHint : 1
; COMPUTE_PGM_RSRC2:SCRATCH_EN: 0
; COMPUTE_PGM_RSRC2:USER_SGPR: 6
; COMPUTE_PGM_RSRC2:TRAP_HANDLER: 0
; COMPUTE_PGM_RSRC2:TGID_X_EN: 1
; COMPUTE_PGM_RSRC2:TGID_Y_EN: 0
; COMPUTE_PGM_RSRC2:TGID_Z_EN: 0
; COMPUTE_PGM_RSRC2:TIDIG_COMP_CNT: 0
	.text
	.p2alignl 6, 3214868480
	.fill 48, 4, 3214868480
	.type	__hip_cuid_c8522d09547b5cf4,@object ; @__hip_cuid_c8522d09547b5cf4
	.section	.bss,"aw",@nobits
	.globl	__hip_cuid_c8522d09547b5cf4
__hip_cuid_c8522d09547b5cf4:
	.byte	0                               ; 0x0
	.size	__hip_cuid_c8522d09547b5cf4, 1

	.ident	"AMD clang version 19.0.0git (https://github.com/RadeonOpenCompute/llvm-project roc-6.4.0 25133 c7fe45cf4b819c5991fe208aaa96edf142730f1d)"
	.section	".note.GNU-stack","",@progbits
	.addrsig
	.addrsig_sym __hip_cuid_c8522d09547b5cf4
	.amdgpu_metadata
---
amdhsa.kernels:
  - .args:
      - .actual_access:  read_only
        .address_space:  global
        .offset:         0
        .size:           8
        .value_kind:     global_buffer
      - .address_space:  global
        .offset:         8
        .size:           8
        .value_kind:     global_buffer
      - .actual_access:  read_only
        .address_space:  global
        .offset:         16
        .size:           8
        .value_kind:     global_buffer
      - .actual_access:  read_only
        .address_space:  global
        .offset:         24
        .size:           8
        .value_kind:     global_buffer
      - .offset:         32
        .size:           8
        .value_kind:     by_value
      - .actual_access:  read_only
        .address_space:  global
        .offset:         40
        .size:           8
        .value_kind:     global_buffer
      - .actual_access:  read_only
        .address_space:  global
        .offset:         48
        .size:           8
        .value_kind:     global_buffer
      - .offset:         56
        .size:           4
        .value_kind:     by_value
      - .actual_access:  read_only
        .address_space:  global
        .offset:         64
        .size:           8
        .value_kind:     global_buffer
      - .actual_access:  read_only
        .address_space:  global
        .offset:         72
        .size:           8
        .value_kind:     global_buffer
      - .address_space:  global
        .offset:         80
        .size:           8
        .value_kind:     global_buffer
    .group_segment_fixed_size: 0
    .kernarg_segment_align: 8
    .kernarg_segment_size: 88
    .language:       OpenCL C
    .language_version:
      - 2
      - 0
    .max_flat_workgroup_size: 252
    .name:           fft_rtc_fwd_len216_factors_6_4_3_3_wgs_252_tpt_18_dim2_sp_ip_CI_sbcc_twdbase8_3step_dirReg
    .private_segment_fixed_size: 0
    .sgpr_count:     25
    .sgpr_spill_count: 0
    .symbol:         fft_rtc_fwd_len216_factors_6_4_3_3_wgs_252_tpt_18_dim2_sp_ip_CI_sbcc_twdbase8_3step_dirReg.kd
    .uniform_work_group_size: 1
    .uses_dynamic_stack: false
    .vgpr_count:     79
    .vgpr_spill_count: 0
    .wavefront_size: 32
    .workgroup_processor_mode: 1
amdhsa.target:   amdgcn-amd-amdhsa--gfx1030
amdhsa.version:
  - 1
  - 2
...

	.end_amdgpu_metadata
